;; amdgpu-corpus repo=ROCm/rocFFT kind=compiled arch=gfx906 opt=O3
	.text
	.amdgcn_target "amdgcn-amd-amdhsa--gfx906"
	.amdhsa_code_object_version 6
	.protected	fft_rtc_back_len1014_factors_13_6_13_wgs_156_tpt_78_sp_ip_CI_unitstride_sbrr_dirReg ; -- Begin function fft_rtc_back_len1014_factors_13_6_13_wgs_156_tpt_78_sp_ip_CI_unitstride_sbrr_dirReg
	.globl	fft_rtc_back_len1014_factors_13_6_13_wgs_156_tpt_78_sp_ip_CI_unitstride_sbrr_dirReg
	.p2align	8
	.type	fft_rtc_back_len1014_factors_13_6_13_wgs_156_tpt_78_sp_ip_CI_unitstride_sbrr_dirReg,@function
fft_rtc_back_len1014_factors_13_6_13_wgs_156_tpt_78_sp_ip_CI_unitstride_sbrr_dirReg: ; @fft_rtc_back_len1014_factors_13_6_13_wgs_156_tpt_78_sp_ip_CI_unitstride_sbrr_dirReg
; %bb.0:
	s_load_dwordx2 s[2:3], s[4:5], 0x50
	s_load_dwordx4 s[8:11], s[4:5], 0x0
	s_load_dwordx2 s[12:13], s[4:5], 0x18
	v_mul_u32_u24_e32 v1, 0x349, v0
	v_lshrrev_b32_e32 v28, 16, v1
	v_mov_b32_e32 v3, 0
	s_waitcnt lgkmcnt(0)
	v_cmp_lt_u64_e64 s[0:1], s[10:11], 2
	v_mov_b32_e32 v1, 0
	v_lshl_add_u32 v5, s6, 1, v28
	v_mov_b32_e32 v6, v3
	s_and_b64 vcc, exec, s[0:1]
	v_mov_b32_e32 v2, 0
	s_cbranch_vccnz .LBB0_8
; %bb.1:
	s_load_dwordx2 s[0:1], s[4:5], 0x10
	s_add_u32 s6, s12, 8
	s_addc_u32 s7, s13, 0
	v_mov_b32_e32 v1, 0
	v_mov_b32_e32 v2, 0
	s_waitcnt lgkmcnt(0)
	s_add_u32 s14, s0, 8
	s_addc_u32 s15, s1, 0
	s_mov_b64 s[16:17], 1
.LBB0_2:                                ; =>This Inner Loop Header: Depth=1
	s_load_dwordx2 s[18:19], s[14:15], 0x0
                                        ; implicit-def: $vgpr7_vgpr8
	s_waitcnt lgkmcnt(0)
	v_or_b32_e32 v4, s19, v6
	v_cmp_ne_u64_e32 vcc, 0, v[3:4]
	s_and_saveexec_b64 s[0:1], vcc
	s_xor_b64 s[20:21], exec, s[0:1]
	s_cbranch_execz .LBB0_4
; %bb.3:                                ;   in Loop: Header=BB0_2 Depth=1
	v_cvt_f32_u32_e32 v4, s18
	v_cvt_f32_u32_e32 v7, s19
	s_sub_u32 s0, 0, s18
	s_subb_u32 s1, 0, s19
	v_mac_f32_e32 v4, 0x4f800000, v7
	v_rcp_f32_e32 v4, v4
	v_mul_f32_e32 v4, 0x5f7ffffc, v4
	v_mul_f32_e32 v7, 0x2f800000, v4
	v_trunc_f32_e32 v7, v7
	v_mac_f32_e32 v4, 0xcf800000, v7
	v_cvt_u32_f32_e32 v7, v7
	v_cvt_u32_f32_e32 v4, v4
	v_mul_lo_u32 v8, s0, v7
	v_mul_hi_u32 v9, s0, v4
	v_mul_lo_u32 v11, s1, v4
	v_mul_lo_u32 v10, s0, v4
	v_add_u32_e32 v8, v9, v8
	v_add_u32_e32 v8, v8, v11
	v_mul_hi_u32 v9, v4, v10
	v_mul_lo_u32 v11, v4, v8
	v_mul_hi_u32 v13, v4, v8
	v_mul_hi_u32 v12, v7, v10
	v_mul_lo_u32 v10, v7, v10
	v_mul_hi_u32 v14, v7, v8
	v_add_co_u32_e32 v9, vcc, v9, v11
	v_addc_co_u32_e32 v11, vcc, 0, v13, vcc
	v_mul_lo_u32 v8, v7, v8
	v_add_co_u32_e32 v9, vcc, v9, v10
	v_addc_co_u32_e32 v9, vcc, v11, v12, vcc
	v_addc_co_u32_e32 v10, vcc, 0, v14, vcc
	v_add_co_u32_e32 v8, vcc, v9, v8
	v_addc_co_u32_e32 v9, vcc, 0, v10, vcc
	v_add_co_u32_e32 v4, vcc, v4, v8
	v_addc_co_u32_e32 v7, vcc, v7, v9, vcc
	v_mul_lo_u32 v8, s0, v7
	v_mul_hi_u32 v9, s0, v4
	v_mul_lo_u32 v10, s1, v4
	v_mul_lo_u32 v11, s0, v4
	v_add_u32_e32 v8, v9, v8
	v_add_u32_e32 v8, v8, v10
	v_mul_lo_u32 v12, v4, v8
	v_mul_hi_u32 v13, v4, v11
	v_mul_hi_u32 v14, v4, v8
	;; [unrolled: 1-line block ×3, first 2 shown]
	v_mul_lo_u32 v11, v7, v11
	v_mul_hi_u32 v9, v7, v8
	v_add_co_u32_e32 v12, vcc, v13, v12
	v_addc_co_u32_e32 v13, vcc, 0, v14, vcc
	v_mul_lo_u32 v8, v7, v8
	v_add_co_u32_e32 v11, vcc, v12, v11
	v_addc_co_u32_e32 v10, vcc, v13, v10, vcc
	v_addc_co_u32_e32 v9, vcc, 0, v9, vcc
	v_add_co_u32_e32 v8, vcc, v10, v8
	v_addc_co_u32_e32 v9, vcc, 0, v9, vcc
	v_add_co_u32_e32 v4, vcc, v4, v8
	v_addc_co_u32_e32 v9, vcc, v7, v9, vcc
	v_mad_u64_u32 v[7:8], s[0:1], v5, v9, 0
	v_mul_hi_u32 v10, v5, v4
	v_add_co_u32_e32 v11, vcc, v10, v7
	v_addc_co_u32_e32 v12, vcc, 0, v8, vcc
	v_mad_u64_u32 v[7:8], s[0:1], v6, v4, 0
	v_mad_u64_u32 v[9:10], s[0:1], v6, v9, 0
	v_add_co_u32_e32 v4, vcc, v11, v7
	v_addc_co_u32_e32 v4, vcc, v12, v8, vcc
	v_addc_co_u32_e32 v7, vcc, 0, v10, vcc
	v_add_co_u32_e32 v4, vcc, v4, v9
	v_addc_co_u32_e32 v9, vcc, 0, v7, vcc
	v_mul_lo_u32 v10, s19, v4
	v_mul_lo_u32 v11, s18, v9
	v_mad_u64_u32 v[7:8], s[0:1], s18, v4, 0
	v_add3_u32 v8, v8, v11, v10
	v_sub_u32_e32 v10, v6, v8
	v_mov_b32_e32 v11, s19
	v_sub_co_u32_e32 v7, vcc, v5, v7
	v_subb_co_u32_e64 v10, s[0:1], v10, v11, vcc
	v_subrev_co_u32_e64 v11, s[0:1], s18, v7
	v_subbrev_co_u32_e64 v10, s[0:1], 0, v10, s[0:1]
	v_cmp_le_u32_e64 s[0:1], s19, v10
	v_cndmask_b32_e64 v12, 0, -1, s[0:1]
	v_cmp_le_u32_e64 s[0:1], s18, v11
	v_cndmask_b32_e64 v11, 0, -1, s[0:1]
	v_cmp_eq_u32_e64 s[0:1], s19, v10
	v_cndmask_b32_e64 v10, v12, v11, s[0:1]
	v_add_co_u32_e64 v11, s[0:1], 2, v4
	v_addc_co_u32_e64 v12, s[0:1], 0, v9, s[0:1]
	v_add_co_u32_e64 v13, s[0:1], 1, v4
	v_addc_co_u32_e64 v14, s[0:1], 0, v9, s[0:1]
	v_subb_co_u32_e32 v8, vcc, v6, v8, vcc
	v_cmp_ne_u32_e64 s[0:1], 0, v10
	v_cmp_le_u32_e32 vcc, s19, v8
	v_cndmask_b32_e64 v10, v14, v12, s[0:1]
	v_cndmask_b32_e64 v12, 0, -1, vcc
	v_cmp_le_u32_e32 vcc, s18, v7
	v_cndmask_b32_e64 v7, 0, -1, vcc
	v_cmp_eq_u32_e32 vcc, s19, v8
	v_cndmask_b32_e32 v7, v12, v7, vcc
	v_cmp_ne_u32_e32 vcc, 0, v7
	v_cndmask_b32_e64 v7, v13, v11, s[0:1]
	v_cndmask_b32_e32 v8, v9, v10, vcc
	v_cndmask_b32_e32 v7, v4, v7, vcc
.LBB0_4:                                ;   in Loop: Header=BB0_2 Depth=1
	s_andn2_saveexec_b64 s[0:1], s[20:21]
	s_cbranch_execz .LBB0_6
; %bb.5:                                ;   in Loop: Header=BB0_2 Depth=1
	v_cvt_f32_u32_e32 v4, s18
	s_sub_i32 s20, 0, s18
	v_rcp_iflag_f32_e32 v4, v4
	v_mul_f32_e32 v4, 0x4f7ffffe, v4
	v_cvt_u32_f32_e32 v4, v4
	v_mul_lo_u32 v7, s20, v4
	v_mul_hi_u32 v7, v4, v7
	v_add_u32_e32 v4, v4, v7
	v_mul_hi_u32 v4, v5, v4
	v_mul_lo_u32 v7, v4, s18
	v_add_u32_e32 v8, 1, v4
	v_sub_u32_e32 v7, v5, v7
	v_subrev_u32_e32 v9, s18, v7
	v_cmp_le_u32_e32 vcc, s18, v7
	v_cndmask_b32_e32 v7, v7, v9, vcc
	v_cndmask_b32_e32 v4, v4, v8, vcc
	v_add_u32_e32 v8, 1, v4
	v_cmp_le_u32_e32 vcc, s18, v7
	v_cndmask_b32_e32 v7, v4, v8, vcc
	v_mov_b32_e32 v8, v3
.LBB0_6:                                ;   in Loop: Header=BB0_2 Depth=1
	s_or_b64 exec, exec, s[0:1]
	v_mul_lo_u32 v4, v8, s18
	v_mul_lo_u32 v11, v7, s19
	v_mad_u64_u32 v[9:10], s[0:1], v7, s18, 0
	s_load_dwordx2 s[0:1], s[6:7], 0x0
	s_add_u32 s16, s16, 1
	v_add3_u32 v4, v10, v11, v4
	v_sub_co_u32_e32 v5, vcc, v5, v9
	v_subb_co_u32_e32 v4, vcc, v6, v4, vcc
	s_waitcnt lgkmcnt(0)
	v_mul_lo_u32 v4, s0, v4
	v_mul_lo_u32 v6, s1, v5
	v_mad_u64_u32 v[1:2], s[0:1], s0, v5, v[1:2]
	s_addc_u32 s17, s17, 0
	s_add_u32 s6, s6, 8
	v_add3_u32 v2, v6, v2, v4
	v_mov_b32_e32 v4, s10
	v_mov_b32_e32 v5, s11
	s_addc_u32 s7, s7, 0
	v_cmp_ge_u64_e32 vcc, s[16:17], v[4:5]
	s_add_u32 s14, s14, 8
	s_addc_u32 s15, s15, 0
	s_cbranch_vccnz .LBB0_9
; %bb.7:                                ;   in Loop: Header=BB0_2 Depth=1
	v_mov_b32_e32 v5, v7
	v_mov_b32_e32 v6, v8
	s_branch .LBB0_2
.LBB0_8:
	v_mov_b32_e32 v8, v6
	v_mov_b32_e32 v7, v5
.LBB0_9:
	s_lshl_b64 s[0:1], s[10:11], 3
	s_add_u32 s0, s12, s0
	s_addc_u32 s1, s13, s1
	s_load_dwordx2 s[6:7], s[0:1], 0x0
	s_load_dwordx2 s[10:11], s[4:5], 0x20
	v_mov_b32_e32 v34, 0
	v_mov_b32_e32 v35, 0
                                        ; implicit-def: $vgpr25
                                        ; implicit-def: $vgpr21
                                        ; implicit-def: $vgpr17
                                        ; implicit-def: $vgpr13
                                        ; implicit-def: $vgpr9
                                        ; implicit-def: $vgpr27
                                        ; implicit-def: $vgpr23
                                        ; implicit-def: $vgpr19
                                        ; implicit-def: $vgpr15
                                        ; implicit-def: $vgpr11
	s_waitcnt lgkmcnt(0)
	v_mad_u64_u32 v[1:2], s[0:1], s6, v7, v[1:2]
	s_mov_b32 s0, 0x3483484
	v_mul_lo_u32 v3, s6, v8
	v_mul_lo_u32 v4, s7, v7
	v_mul_hi_u32 v5, v0, s0
	v_cmp_gt_u64_e32 vcc, s[10:11], v[7:8]
                                        ; implicit-def: $vgpr7
	v_add3_u32 v2, v4, v2, v3
	v_mul_u32_u24_e32 v3, 0x4e, v5
	v_sub_u32_e32 v36, v0, v3
	v_lshlrev_b64 v[32:33], 3, v[1:2]
	v_mov_b32_e32 v0, v34
	v_mov_b32_e32 v1, v35
                                        ; implicit-def: $vgpr5
	s_and_saveexec_b64 s[4:5], vcc
	s_cbranch_execz .LBB0_11
; %bb.10:
	v_mov_b32_e32 v37, 0
	v_mov_b32_e32 v0, s3
	v_add_co_u32_e64 v2, s[0:1], s2, v32
	v_addc_co_u32_e64 v3, s[0:1], v0, v33, s[0:1]
	v_lshlrev_b64 v[0:1], 3, v[36:37]
	v_mov_b32_e32 v34, v36
	v_add_co_u32_e64 v2, s[0:1], v2, v0
	v_addc_co_u32_e64 v3, s[0:1], v3, v1, s[0:1]
	s_movk_i32 s0, 0x1000
	v_add_co_u32_e64 v29, s[0:1], s0, v2
	global_load_dwordx2 v[0:1], v[2:3], off
	global_load_dwordx2 v[24:25], v[2:3], off offset:624
	global_load_dwordx2 v[20:21], v[2:3], off offset:1248
	;; [unrolled: 1-line block ×3, first 2 shown]
	v_addc_co_u32_e64 v30, s[0:1], 0, v3, s[0:1]
	global_load_dwordx2 v[12:13], v[2:3], off offset:2496
	global_load_dwordx2 v[8:9], v[2:3], off offset:3120
	;; [unrolled: 1-line block ×9, first 2 shown]
	v_mov_b32_e32 v35, v37
.LBB0_11:
	s_or_b64 exec, exec, s[4:5]
	s_waitcnt vmcnt(11)
	v_add_f32_e32 v3, v25, v1
	v_add_f32_e32 v2, v24, v0
	s_waitcnt vmcnt(10)
	v_add_f32_e32 v3, v21, v3
	v_add_f32_e32 v2, v20, v2
	;; [unrolled: 3-line block ×12, first 2 shown]
	v_sub_f32_e32 v27, v25, v27
	v_add_f32_e32 v2, v26, v2
	v_add_f32_e32 v30, v24, v26
	v_sub_f32_e32 v26, v24, v26
	v_add_f32_e32 v24, v21, v23
	v_sub_f32_e32 v21, v21, v23
	;; [unrolled: 2-line block ×3, first 2 shown]
	v_mul_f32_e32 v6, 0xbeedf032, v27
	v_add_f32_e32 v40, v5, v7
	v_sub_f32_e32 v43, v5, v7
	v_mov_b32_e32 v4, v6
	v_mul_f32_e32 v7, 0xbf52af12, v21
	v_add_f32_e32 v25, v20, v22
	v_fmac_f32_e32 v4, 0x3f62ad3f, v30
	v_mov_b32_e32 v5, v7
	v_sub_f32_e32 v20, v20, v22
	v_add_f32_e32 v23, v16, v18
	v_sub_f32_e32 v16, v16, v18
	v_add_f32_e32 v18, v13, v15
	;; [unrolled: 2-line block ×4, first 2 shown]
	v_fmac_f32_e32 v5, 0x3f116cb1, v25
	s_mov_b32 s6, 0x3f62ad3f
	v_mul_f32_e32 v10, 0xbeedf032, v26
	v_add_f32_e32 v22, v17, v19
	v_sub_f32_e32 v17, v17, v19
	v_add_f32_e32 v19, v12, v14
	v_sub_f32_e32 v12, v12, v14
	;; [unrolled: 2-line block ×3, first 2 shown]
	v_add_f32_e32 v4, v5, v4
	v_fma_f32 v5, v29, s6, -v10
	s_mov_b32 s4, 0x3f116cb1
	v_mul_f32_e32 v11, 0xbf52af12, v20
	v_add_f32_e32 v5, v5, v1
	v_fma_f32 v31, v24, s4, -v11
	v_add_f32_e32 v5, v31, v5
	v_mul_f32_e32 v31, 0xbf7e222b, v17
	v_mov_b32_e32 v37, v31
	v_fmac_f32_e32 v37, 0x3df6dbef, v23
	v_add_f32_e32 v4, v37, v4
	s_mov_b32 s5, 0x3df6dbef
	v_mul_f32_e32 v37, 0xbf7e222b, v16
	v_fma_f32 v38, v22, s5, -v37
	v_add_f32_e32 v5, v38, v5
	v_mul_f32_e32 v38, 0xbf6f5d39, v13
	v_mov_b32_e32 v41, v38
	v_fmac_f32_e32 v41, 0xbeb58ec6, v19
	s_mov_b32 s7, 0xbeb58ec6
	v_mul_f32_e32 v44, 0xbf6f5d39, v12
	v_add_f32_e32 v4, v41, v4
	v_fma_f32 v41, v18, s7, -v44
	v_mul_f32_e32 v45, 0xbf29c268, v9
	v_add_f32_e32 v5, v41, v5
	v_mov_b32_e32 v41, v45
	v_fmac_f32_e32 v41, 0xbf3f9e67, v15
	s_mov_b32 s10, 0xbf3f9e67
	v_mul_f32_e32 v46, 0xbf29c268, v8
	v_add_f32_e32 v4, v41, v4
	v_fma_f32 v41, v14, s10, -v46
	v_mul_f32_e32 v47, 0xbe750f2a, v43
	v_add_f32_e32 v5, v41, v5
	v_mov_b32_e32 v41, v47
	s_mov_b32 s11, 0xbf788fa5
	v_fmac_f32_e32 v41, 0xbf788fa5, v39
	v_mul_f32_e32 v48, 0xbe750f2a, v42
	v_add_f32_e32 v4, v41, v4
	v_fma_f32 v41, v40, s11, -v48
	v_and_b32_e32 v28, 1, v28
	v_add_f32_e32 v5, v41, v5
	v_mov_b32_e32 v41, 0x3f6
	v_cmp_eq_u32_e64 s[0:1], 1, v28
	v_cndmask_b32_e64 v41, 0, v41, s[0:1]
	s_movk_i32 s0, 0x68
	v_lshl_add_u32 v49, v41, 3, 0
	v_mad_u32_u24 v50, v36, s0, v49
	ds_write2_b64 v50, v[2:3], v[4:5] offset1:1
	v_mul_f32_e32 v3, 0xbf52af12, v27
	v_mul_f32_e32 v5, 0xbf7e222b, v27
	;; [unrolled: 1-line block ×5, first 2 shown]
	v_fma_f32 v2, v30, s6, -v6
	v_mov_b32_e32 v4, v3
	v_mov_b32_e32 v6, v5
	;; [unrolled: 1-line block ×5, first 2 shown]
	v_fmac_f32_e32 v4, 0x3f116cb1, v30
	v_fma_f32 v3, v30, s4, -v3
	v_fmac_f32_e32 v6, 0x3df6dbef, v30
	v_fma_f32 v5, v30, s5, -v5
	;; [unrolled: 2-line block ×5, first 2 shown]
	v_mul_f32_e32 v30, 0xbf52af12, v26
	v_fma_f32 v55, v29, s4, -v30
	v_mul_f32_e32 v56, 0xbf7e222b, v26
	v_mul_f32_e32 v58, 0xbf6f5d39, v26
	;; [unrolled: 1-line block ×4, first 2 shown]
	v_fmac_f32_e32 v10, 0x3f62ad3f, v29
	v_fmac_f32_e32 v30, 0x3f116cb1, v29
	v_fma_f32 v57, v29, s5, -v56
	v_fmac_f32_e32 v56, 0x3df6dbef, v29
	v_fma_f32 v59, v29, s7, -v58
	;; [unrolled: 2-line block ×4, first 2 shown]
	v_fmac_f32_e32 v26, 0xbf788fa5, v29
	v_add_f32_e32 v2, v2, v0
	v_add_f32_e32 v4, v4, v0
	;; [unrolled: 1-line block ×12, first 2 shown]
	v_fma_f32 v0, v25, s4, -v7
	v_add_f32_e32 v0, v0, v2
	v_fma_f32 v2, v23, s5, -v31
	v_add_f32_e32 v0, v2, v0
	;; [unrolled: 2-line block ×4, first 2 shown]
	v_fma_f32 v2, v39, s11, -v47
	v_mul_f32_e32 v5, 0xbf6f5d39, v21
	v_add_f32_e32 v10, v10, v1
	v_fmac_f32_e32 v11, 0x3f116cb1, v24
	v_add_f32_e32 v0, v2, v0
	v_mov_b32_e32 v2, v5
	v_mul_f32_e32 v7, 0xbe750f2a, v17
	v_add_f32_e32 v30, v30, v1
	v_add_f32_e32 v57, v57, v1
	;; [unrolled: 1-line block ×10, first 2 shown]
	v_fmac_f32_e32 v2, 0xbeb58ec6, v25
	v_mov_b32_e32 v10, v7
	v_add_f32_e32 v2, v2, v4
	v_mul_f32_e32 v4, 0xbf6f5d39, v20
	v_fmac_f32_e32 v10, 0xbf788fa5, v23
	v_fma_f32 v3, v24, s7, -v4
	v_add_f32_e32 v2, v10, v2
	v_mul_f32_e32 v10, 0xbe750f2a, v16
	v_add_f32_e32 v3, v3, v29
	v_fma_f32 v11, v22, s11, -v10
	v_add_f32_e32 v3, v11, v3
	v_mul_f32_e32 v11, 0x3f29c268, v13
	v_mov_b32_e32 v26, v11
	v_fmac_f32_e32 v26, 0xbf3f9e67, v19
	v_add_f32_e32 v2, v26, v2
	v_mul_f32_e32 v26, 0x3f29c268, v12
	v_fma_f32 v27, v18, s10, -v26
	v_add_f32_e32 v3, v27, v3
	v_mul_f32_e32 v27, 0x3f7e222b, v9
	v_mov_b32_e32 v29, v27
	v_fmac_f32_e32 v29, 0x3df6dbef, v15
	v_add_f32_e32 v2, v29, v2
	v_mul_f32_e32 v29, 0x3f7e222b, v8
	v_fma_f32 v31, v14, s5, -v29
	v_fmac_f32_e32 v37, 0x3df6dbef, v22
	v_add_f32_e32 v3, v31, v3
	v_mul_f32_e32 v31, 0x3eedf032, v43
	v_fma_f32 v5, v25, s7, -v5
	v_fmac_f32_e32 v4, 0xbeb58ec6, v24
	v_add_f32_e32 v1, v37, v1
	v_mov_b32_e32 v37, v31
	v_add_f32_e32 v5, v5, v55
	v_add_f32_e32 v4, v4, v30
	v_fma_f32 v7, v23, s11, -v7
	v_fmac_f32_e32 v10, 0xbf788fa5, v22
	v_fmac_f32_e32 v37, 0x3f62ad3f, v39
	v_add_f32_e32 v5, v7, v5
	v_add_f32_e32 v4, v10, v4
	v_fma_f32 v7, v19, s10, -v11
	v_fmac_f32_e32 v26, 0xbf3f9e67, v18
	v_add_f32_e32 v2, v37, v2
	v_mul_f32_e32 v37, 0x3eedf032, v42
	v_add_f32_e32 v5, v7, v5
	v_add_f32_e32 v4, v26, v4
	v_fma_f32 v7, v15, s5, -v27
	v_fmac_f32_e32 v29, 0x3df6dbef, v14
	v_fma_f32 v38, v40, s6, -v37
	v_add_f32_e32 v5, v7, v5
	v_add_f32_e32 v7, v29, v4
	v_fma_f32 v4, v39, s6, -v31
	v_fmac_f32_e32 v37, 0x3f62ad3f, v40
	v_mul_f32_e32 v10, 0xbe750f2a, v21
	v_add_f32_e32 v4, v4, v5
	v_add_f32_e32 v5, v37, v7
	v_mov_b32_e32 v7, v10
	v_mul_f32_e32 v26, 0x3f6f5d39, v17
	v_fmac_f32_e32 v7, 0xbf788fa5, v25
	v_mov_b32_e32 v27, v26
	v_add_f32_e32 v6, v7, v6
	v_mul_f32_e32 v11, 0xbe750f2a, v20
	v_fmac_f32_e32 v27, 0xbeb58ec6, v23
	v_fma_f32 v7, v24, s11, -v11
	v_add_f32_e32 v6, v27, v6
	v_mul_f32_e32 v27, 0x3f6f5d39, v16
	v_add_f32_e32 v7, v7, v57
	v_fma_f32 v29, v22, s7, -v27
	v_add_f32_e32 v7, v29, v7
	v_mul_f32_e32 v29, 0x3eedf032, v13
	v_mov_b32_e32 v30, v29
	v_fmac_f32_e32 v30, 0x3f62ad3f, v19
	v_add_f32_e32 v6, v30, v6
	v_mul_f32_e32 v30, 0x3eedf032, v12
	v_fma_f32 v31, v18, s6, -v30
	v_add_f32_e32 v7, v31, v7
	v_mul_f32_e32 v31, 0xbf52af12, v9
	v_mov_b32_e32 v37, v31
	v_fmac_f32_e32 v37, 0x3f116cb1, v15
	v_fma_f32 v10, v25, s11, -v10
	v_add_f32_e32 v6, v37, v6
	v_mul_f32_e32 v37, 0xbf52af12, v8
	v_add_f32_e32 v10, v10, v63
	v_fma_f32 v26, v23, s7, -v26
	v_add_f32_e32 v3, v38, v3
	v_fma_f32 v38, v14, s4, -v37
	v_fmac_f32_e32 v11, 0xbf788fa5, v24
	v_add_f32_e32 v10, v26, v10
	v_fma_f32 v26, v19, s6, -v29
	v_add_f32_e32 v7, v38, v7
	v_mul_f32_e32 v38, 0xbf29c268, v43
	v_add_f32_e32 v11, v11, v56
	v_fmac_f32_e32 v27, 0xbeb58ec6, v22
	v_add_f32_e32 v10, v26, v10
	v_fma_f32 v26, v15, s4, -v31
	v_add_f32_e32 v11, v27, v11
	v_fmac_f32_e32 v30, 0x3f62ad3f, v18
	v_add_f32_e32 v10, v26, v10
	v_fma_f32 v26, v39, s10, -v38
	v_mul_f32_e32 v29, 0x3f29c268, v21
	v_add_f32_e32 v11, v30, v11
	v_fmac_f32_e32 v37, 0x3f116cb1, v14
	v_add_f32_e32 v10, v26, v10
	v_mov_b32_e32 v26, v29
	v_mul_f32_e32 v31, 0x3eedf032, v17
	v_fmac_f32_e32 v44, 0xbeb58ec6, v18
	v_add_f32_e32 v11, v37, v11
	v_fmac_f32_e32 v26, 0xbf3f9e67, v25
	v_mov_b32_e32 v37, v31
	v_add_f32_e32 v1, v44, v1
	v_mov_b32_e32 v44, v38
	v_add_f32_e32 v26, v26, v51
	v_mul_f32_e32 v30, 0x3f29c268, v20
	v_fmac_f32_e32 v37, 0x3f62ad3f, v23
	v_fmac_f32_e32 v44, 0xbf3f9e67, v39
	v_fma_f32 v27, v24, s10, -v30
	v_add_f32_e32 v26, v37, v26
	v_mul_f32_e32 v37, 0x3eedf032, v16
	v_add_f32_e32 v6, v44, v6
	v_mul_f32_e32 v44, 0xbf29c268, v42
	v_add_f32_e32 v27, v27, v59
	v_fma_f32 v38, v22, s6, -v37
	v_fma_f32 v45, v40, s10, -v44
	v_fmac_f32_e32 v44, 0xbf3f9e67, v40
	v_add_f32_e32 v27, v38, v27
	v_mul_f32_e32 v38, 0xbf7e222b, v13
	v_add_f32_e32 v11, v44, v11
	v_mov_b32_e32 v44, v38
	v_fmac_f32_e32 v44, 0x3df6dbef, v19
	v_add_f32_e32 v26, v44, v26
	v_mul_f32_e32 v44, 0xbf7e222b, v12
	v_add_f32_e32 v7, v45, v7
	v_fma_f32 v45, v18, s5, -v44
	v_fmac_f32_e32 v46, 0xbf3f9e67, v14
	v_add_f32_e32 v27, v45, v27
	v_mul_f32_e32 v45, 0x3e750f2a, v9
	v_add_f32_e32 v1, v46, v1
	v_mov_b32_e32 v46, v45
	v_fmac_f32_e32 v46, 0xbf788fa5, v15
	v_fma_f32 v29, v25, s10, -v29
	v_fmac_f32_e32 v30, 0xbf3f9e67, v24
	v_add_f32_e32 v26, v46, v26
	v_mul_f32_e32 v46, 0x3e750f2a, v8
	v_add_f32_e32 v28, v29, v28
	v_add_f32_e32 v29, v30, v58
	v_fma_f32 v30, v23, s6, -v31
	v_fma_f32 v47, v14, s11, -v46
	v_add_f32_e32 v28, v30, v28
	v_fma_f32 v30, v19, s5, -v38
	v_add_f32_e32 v27, v47, v27
	v_mul_f32_e32 v47, 0x3f52af12, v43
	v_fmac_f32_e32 v37, 0x3f62ad3f, v22
	v_add_f32_e32 v28, v30, v28
	v_fma_f32 v30, v15, s11, -v45
	v_add_f32_e32 v29, v37, v29
	v_fmac_f32_e32 v44, 0x3df6dbef, v18
	v_add_f32_e32 v28, v30, v28
	v_fma_f32 v30, v39, s4, -v47
	v_mul_f32_e32 v37, 0x3f7e222b, v21
	v_add_f32_e32 v29, v44, v29
	v_add_f32_e32 v28, v30, v28
	v_mov_b32_e32 v30, v37
	v_mul_f32_e32 v44, 0xbf52af12, v17
	v_fmac_f32_e32 v30, 0x3df6dbef, v25
	v_mov_b32_e32 v45, v44
	v_add_f32_e32 v30, v30, v53
	v_mul_f32_e32 v38, 0x3f7e222b, v20
	v_fmac_f32_e32 v45, 0x3f116cb1, v23
	v_fmac_f32_e32 v46, 0xbf788fa5, v14
	v_fma_f32 v31, v24, s5, -v38
	v_add_f32_e32 v30, v45, v30
	v_mul_f32_e32 v45, 0xbf52af12, v16
	v_fmac_f32_e32 v48, 0xbf788fa5, v40
	v_add_f32_e32 v29, v46, v29
	v_add_f32_e32 v31, v31, v61
	v_fma_f32 v46, v22, s4, -v45
	v_add_f32_e32 v1, v48, v1
	v_mov_b32_e32 v48, v47
	v_add_f32_e32 v31, v46, v31
	v_mul_f32_e32 v46, 0x3e750f2a, v13
	v_fmac_f32_e32 v48, 0x3f116cb1, v39
	v_mov_b32_e32 v47, v46
	v_add_f32_e32 v26, v48, v26
	v_mul_f32_e32 v48, 0x3f52af12, v42
	v_fmac_f32_e32 v47, 0xbf788fa5, v19
	v_fma_f32 v51, v40, s4, -v48
	v_fmac_f32_e32 v48, 0x3f116cb1, v40
	v_add_f32_e32 v30, v47, v30
	v_mul_f32_e32 v47, 0x3e750f2a, v12
	v_add_f32_e32 v29, v48, v29
	v_fma_f32 v48, v18, s11, -v47
	v_add_f32_e32 v31, v48, v31
	v_mul_f32_e32 v48, 0x3eedf032, v9
	v_add_f32_e32 v27, v51, v27
	v_mov_b32_e32 v51, v48
	v_fmac_f32_e32 v51, 0x3f62ad3f, v15
	v_fma_f32 v37, v25, s5, -v37
	v_add_f32_e32 v30, v51, v30
	v_mul_f32_e32 v51, 0x3eedf032, v8
	v_add_f32_e32 v37, v37, v52
	v_fma_f32 v44, v23, s4, -v44
	v_fma_f32 v53, v14, s6, -v51
	v_add_f32_e32 v37, v44, v37
	v_fma_f32 v44, v19, s11, -v46
	v_add_f32_e32 v31, v53, v31
	v_mul_f32_e32 v53, 0xbf6f5d39, v43
	v_add_f32_e32 v37, v44, v37
	v_fma_f32 v44, v15, s6, -v48
	v_add_f32_e32 v37, v44, v37
	v_fma_f32 v44, v39, s7, -v53
	v_mul_f32_e32 v21, 0x3eedf032, v21
	v_fmac_f32_e32 v38, 0x3df6dbef, v24
	v_add_f32_e32 v37, v44, v37
	v_mov_b32_e32 v44, v21
	v_mul_f32_e32 v17, 0xbf29c268, v17
	v_add_f32_e32 v38, v38, v60
	v_fmac_f32_e32 v45, 0x3f116cb1, v22
	v_fmac_f32_e32 v44, 0x3f62ad3f, v25
	v_mul_f32_e32 v20, 0x3eedf032, v20
	v_mov_b32_e32 v46, v17
	v_add_f32_e32 v38, v45, v38
	v_add_f32_e32 v44, v44, v54
	v_fma_f32 v45, v24, s6, -v20
	v_fmac_f32_e32 v46, 0xbf3f9e67, v23
	v_mul_f32_e32 v16, 0xbf29c268, v16
	v_add_f32_e32 v45, v45, v62
	v_add_f32_e32 v44, v46, v44
	v_fma_f32 v46, v22, s10, -v16
	v_mul_f32_e32 v13, 0x3f52af12, v13
	v_add_f32_e32 v45, v46, v45
	v_mov_b32_e32 v46, v13
	v_fmac_f32_e32 v46, 0x3f116cb1, v19
	v_mul_f32_e32 v12, 0x3f52af12, v12
	v_add_f32_e32 v44, v46, v44
	v_fma_f32 v46, v18, s4, -v12
	v_add_f32_e32 v45, v46, v45
	v_mul_f32_e32 v46, 0xbf6f5d39, v9
	v_mov_b32_e32 v9, v46
	v_fmac_f32_e32 v9, 0xbeb58ec6, v15
	v_add_f32_e32 v9, v9, v44
	v_mul_f32_e32 v44, 0xbf6f5d39, v8
	v_fma_f32 v21, v25, s6, -v21
	v_fmac_f32_e32 v20, 0x3f62ad3f, v24
	v_mov_b32_e32 v55, v53
	v_fma_f32 v8, v14, s7, -v44
	v_mul_f32_e32 v43, 0x3f7e222b, v43
	v_add_f32_e32 v21, v21, v64
	v_add_f32_e32 v20, v20, v65
	v_fma_f32 v17, v23, s10, -v17
	v_fmac_f32_e32 v16, 0xbf3f9e67, v22
	v_fmac_f32_e32 v55, 0xbeb58ec6, v39
	v_add_f32_e32 v45, v8, v45
	v_mov_b32_e32 v8, v43
	v_add_f32_e32 v17, v17, v21
	v_add_f32_e32 v16, v16, v20
	v_fma_f32 v13, v19, s4, -v13
	v_fmac_f32_e32 v12, 0x3f116cb1, v18
	v_add_f32_e32 v30, v55, v30
	v_mul_f32_e32 v55, 0xbf6f5d39, v42
	v_fmac_f32_e32 v47, 0xbf788fa5, v18
	v_fmac_f32_e32 v8, 0x3df6dbef, v39
	v_mul_f32_e32 v42, 0x3f7e222b, v42
	v_add_f32_e32 v13, v13, v17
	v_add_f32_e32 v12, v12, v16
	v_fma_f32 v15, v15, s7, -v46
	v_fmac_f32_e32 v44, 0xbeb58ec6, v14
	v_add_f32_e32 v38, v47, v38
	v_fmac_f32_e32 v51, 0x3f62ad3f, v14
	v_add_f32_e32 v8, v8, v9
	v_fma_f32 v9, v40, s5, -v42
	v_add_f32_e32 v13, v15, v13
	v_add_f32_e32 v14, v44, v12
	v_fma_f32 v12, v39, s5, -v43
	v_fmac_f32_e32 v42, 0x3df6dbef, v40
	s_movk_i32 s0, 0xffa0
	v_fma_f32 v56, v40, s7, -v55
	v_add_f32_e32 v38, v51, v38
	v_fmac_f32_e32 v55, 0xbeb58ec6, v40
	v_add_f32_e32 v12, v12, v13
	v_add_f32_e32 v13, v42, v14
	v_mad_i32_i24 v42, v36, s0, v50
	v_add_f32_e32 v31, v56, v31
	v_add_f32_e32 v38, v55, v38
	;; [unrolled: 1-line block ×3, first 2 shown]
	ds_write2_b64 v50, v[2:3], v[6:7] offset0:2 offset1:3
	ds_write2_b64 v50, v[26:27], v[30:31] offset0:4 offset1:5
	;; [unrolled: 1-line block ×5, first 2 shown]
	ds_write_b64 v50, v[0:1] offset:96
	v_add_u32_e32 v3, 0x800, v42
	s_waitcnt lgkmcnt(0)
	s_barrier
	ds_read2_b64 v[20:23], v3 offset0:160 offset1:251
	v_add_u32_e32 v3, 0x1000, v42
	v_add_u32_e32 v2, 0x400, v42
	ds_read2_b64 v[24:27], v3 offset0:73 offset1:164
	v_add_u32_e32 v3, 0x1400, v42
	v_lshl_add_u32 v43, v36, 3, v49
	ds_read2_b64 v[12:15], v42 offset0:78 offset1:169
	ds_read2_b64 v[16:19], v2 offset0:119 offset1:210
	;; [unrolled: 1-line block ×3, first 2 shown]
	ds_read_b64 v[37:38], v43
	ds_read_b64 v[39:40], v42 offset:7384
	v_cmp_gt_u32_e64 s[0:1], 13, v36
                                        ; implicit-def: $vgpr11
                                        ; implicit-def: $vgpr7
	s_and_saveexec_b64 s[4:5], s[0:1]
	s_cbranch_execz .LBB0_13
; %bb.12:
	v_add_u32_e32 v4, 0xe00, v42
	v_add_u32_e32 v8, 0x1800, v42
	ds_read2_b64 v[0:3], v2 offset0:28 offset1:197
	ds_read2_b64 v[4:7], v4 offset0:46 offset1:215
	;; [unrolled: 1-line block ×3, first 2 shown]
.LBB0_13:
	s_or_b64 exec, exec, s[4:5]
	s_movk_i32 s6, 0x4f
	v_mul_lo_u16_sdwa v44, v36, s6 dst_sel:DWORD dst_unused:UNUSED_PAD src0_sel:BYTE_0 src1_sel:DWORD
	v_lshrrev_b16_e32 v65, 10, v44
	v_add_u16_e32 v54, 0x4e, v36
	v_mul_lo_u16_e32 v44, 13, v65
	v_mul_lo_u16_sdwa v55, v54, s6 dst_sel:DWORD dst_unused:UNUSED_PAD src0_sel:BYTE_0 src1_sel:DWORD
	v_sub_u16_e32 v66, v36, v44
	v_mov_b32_e32 v44, 5
	v_lshrrev_b16_e32 v67, 10, v55
	v_mul_u32_u24_sdwa v45, v66, v44 dst_sel:DWORD dst_unused:UNUSED_PAD src0_sel:BYTE_0 src1_sel:DWORD
	v_mul_lo_u16_e32 v55, 13, v67
	v_lshlrev_b32_e32 v53, 3, v45
	v_sub_u16_e32 v68, v54, v55
	global_load_dwordx4 v[45:48], v53, s[8:9]
	global_load_dwordx4 v[49:52], v53, s[8:9] offset:16
	v_mul_u32_u24_sdwa v54, v68, v44 dst_sel:DWORD dst_unused:UNUSED_PAD src0_sel:BYTE_0 src1_sel:DWORD
	global_load_dwordx2 v[61:62], v53, s[8:9] offset:32
	v_lshlrev_b32_e32 v69, 3, v54
	global_load_dwordx4 v[53:56], v69, s[8:9]
	global_load_dwordx4 v[57:60], v69, s[8:9] offset:16
	global_load_dwordx2 v[63:64], v69, s[8:9] offset:32
	s_movk_i32 s4, 0x270
	s_waitcnt vmcnt(0) lgkmcnt(0)
	s_barrier
	v_mul_f32_e32 v69, v46, v15
	v_mul_f32_e32 v46, v46, v14
	;; [unrolled: 1-line block ×12, first 2 shown]
	v_fmac_f32_e32 v69, v45, v14
	v_fma_f32 v45, v45, v15, -v46
	v_fma_f32 v14, v47, v19, -v48
	;; [unrolled: 1-line block ×4, first 2 shown]
	v_mul_f32_e32 v75, v56, v21
	v_mul_f32_e32 v56, v56, v20
	v_fmac_f32_e32 v70, v47, v18
	v_fmac_f32_e32 v71, v49, v22
	v_fma_f32 v18, v51, v27, -v52
	v_fmac_f32_e32 v73, v61, v30
	v_fma_f32 v27, v57, v25, -v58
	v_sub_f32_e32 v25, v15, v19
	v_add_f32_e32 v30, v45, v15
	v_add_f32_e32 v15, v15, v19
	v_mul_f32_e32 v74, v54, v17
	v_mul_f32_e32 v54, v54, v16
	;; [unrolled: 1-line block ×3, first 2 shown]
	v_fmac_f32_e32 v72, v51, v26
	v_fmac_f32_e32 v75, v55, v20
	v_fma_f32 v26, v55, v21, -v56
	v_fmac_f32_e32 v76, v57, v24
	v_sub_f32_e32 v20, v14, v18
	v_add_f32_e32 v21, v38, v14
	v_add_f32_e32 v14, v14, v18
	;; [unrolled: 1-line block ×3, first 2 shown]
	v_fmac_f32_e32 v45, -0.5, v15
	v_mul_f32_e32 v64, v39, v64
	v_fma_f32 v31, v53, v17, -v54
	v_fmac_f32_e32 v78, v39, v63
	v_add_f32_e32 v17, v70, v72
	v_add_f32_e32 v23, v69, v71
	v_sub_f32_e32 v39, v71, v73
	v_fmac_f32_e32 v38, -0.5, v14
	v_fmac_f32_e32 v69, -0.5, v24
	v_add_f32_e32 v30, v30, v19
	v_mov_b32_e32 v19, v45
	v_fmac_f32_e32 v74, v53, v16
	v_add_f32_e32 v16, v37, v70
	v_sub_f32_e32 v22, v70, v72
	v_fma_f32 v37, -0.5, v17, v37
	v_mov_b32_e32 v46, v38
	v_mov_b32_e32 v17, v69
	v_fmac_f32_e32 v45, 0xbf5db3d7, v39
	v_fmac_f32_e32 v19, 0x3f5db3d7, v39
	v_mul_f32_e32 v77, v29, v60
	v_add_f32_e32 v21, v21, v18
	v_mov_b32_e32 v24, v37
	v_fmac_f32_e32 v38, 0xbf5db3d7, v22
	v_fmac_f32_e32 v69, 0x3f5db3d7, v25
	;; [unrolled: 1-line block ×4, first 2 shown]
	v_mul_f32_e32 v22, 0xbf5db3d7, v19
	v_mul_f32_e32 v25, 0xbf5db3d7, v45
	;; [unrolled: 1-line block ×3, first 2 shown]
	v_fmac_f32_e32 v77, v28, v59
	v_fmac_f32_e32 v37, 0x3f5db3d7, v20
	v_fmac_f32_e32 v24, 0xbf5db3d7, v20
	v_fmac_f32_e32 v22, 0.5, v17
	v_fmac_f32_e32 v25, -0.5, v69
	v_add_f32_e32 v15, v21, v30
	v_sub_f32_e32 v21, v21, v30
	v_add_f32_e32 v30, v12, v75
	v_fma_f32 v28, v29, v59, -v60
	v_fma_f32 v29, v40, v63, -v64
	v_add_f32_e32 v40, v16, v72
	v_add_f32_e32 v16, v24, v22
	;; [unrolled: 1-line block ×3, first 2 shown]
	v_mul_f32_e32 v45, -0.5, v45
	v_sub_f32_e32 v22, v24, v22
	v_sub_f32_e32 v24, v37, v25
	v_add_f32_e32 v37, v30, v77
	v_add_f32_e32 v30, v75, v77
	v_fmac_f32_e32 v45, 0x3f5db3d7, v69
	v_fma_f32 v12, -0.5, v30, v12
	v_mul_f32_e32 v39, 0.5, v19
	v_add_f32_e32 v19, v38, v45
	v_sub_f32_e32 v25, v38, v45
	v_sub_f32_e32 v30, v26, v28
	v_mov_b32_e32 v38, v12
	v_fmac_f32_e32 v38, 0xbf5db3d7, v30
	v_fmac_f32_e32 v12, 0x3f5db3d7, v30
	v_add_f32_e32 v30, v13, v26
	v_add_f32_e32 v26, v26, v28
	;; [unrolled: 1-line block ×3, first 2 shown]
	v_fmac_f32_e32 v39, 0x3f5db3d7, v17
	v_fmac_f32_e32 v13, -0.5, v26
	v_add_f32_e32 v14, v40, v23
	v_add_f32_e32 v17, v46, v39
	v_sub_f32_e32 v20, v40, v23
	v_sub_f32_e32 v23, v46, v39
	;; [unrolled: 1-line block ×3, first 2 shown]
	v_mov_b32_e32 v46, v13
	v_fmac_f32_e32 v46, 0x3f5db3d7, v26
	v_fmac_f32_e32 v13, 0xbf5db3d7, v26
	v_add_f32_e32 v26, v74, v76
	v_add_f32_e32 v39, v26, v78
	;; [unrolled: 1-line block ×3, first 2 shown]
	v_fmac_f32_e32 v74, -0.5, v26
	v_sub_f32_e32 v26, v27, v29
	v_mov_b32_e32 v45, v74
	v_fmac_f32_e32 v45, 0xbf5db3d7, v26
	v_fmac_f32_e32 v74, 0x3f5db3d7, v26
	v_add_f32_e32 v26, v31, v27
	v_add_f32_e32 v47, v26, v29
	v_add_f32_e32 v26, v27, v29
	v_fmac_f32_e32 v31, -0.5, v26
	v_sub_f32_e32 v26, v76, v78
	v_mov_b32_e32 v29, v31
	v_fmac_f32_e32 v31, 0xbf5db3d7, v26
	v_fmac_f32_e32 v29, 0x3f5db3d7, v26
	v_mul_f32_e32 v49, 0xbf5db3d7, v31
	v_mul_f32_e32 v48, 0xbf5db3d7, v29
	v_fmac_f32_e32 v49, -0.5, v74
	v_mul_f32_e32 v50, 0.5, v29
	v_mul_f32_e32 v51, -0.5, v31
	v_add_f32_e32 v40, v30, v28
	v_fmac_f32_e32 v48, 0.5, v45
	v_add_f32_e32 v30, v12, v49
	v_fmac_f32_e32 v50, 0x3f5db3d7, v45
	v_fmac_f32_e32 v51, 0x3f5db3d7, v74
	v_sub_f32_e32 v45, v12, v49
	v_mov_b32_e32 v12, 3
	v_add_f32_e32 v26, v37, v39
	v_add_f32_e32 v28, v38, v48
	v_add_f32_e32 v27, v40, v47
	v_add_f32_e32 v29, v46, v50
	v_add_f32_e32 v31, v13, v51
	v_sub_f32_e32 v37, v37, v39
	v_sub_f32_e32 v39, v38, v48
	;; [unrolled: 1-line block ×5, first 2 shown]
	v_mad_u32_u24 v47, v65, s4, 0
	v_lshlrev_b32_sdwa v48, v12, v66 dst_sel:DWORD dst_unused:UNUSED_PAD src0_sel:DWORD src1_sel:BYTE_0
	v_lshlrev_b32_e32 v13, 3, v41
	v_add3_u32 v41, v47, v48, v13
	ds_write2_b64 v41, v[14:15], v[16:17] offset1:13
	ds_write2_b64 v41, v[18:19], v[20:21] offset0:26 offset1:39
	ds_write2_b64 v41, v[22:23], v[24:25] offset0:52 offset1:65
	v_mad_u32_u24 v14, v67, s4, 0
	v_lshlrev_b32_sdwa v15, v12, v68 dst_sel:DWORD dst_unused:UNUSED_PAD src0_sel:DWORD src1_sel:BYTE_0
	v_add3_u32 v14, v14, v15, v13
	ds_write2_b64 v14, v[26:27], v[28:29] offset1:13
	ds_write2_b64 v14, v[30:31], v[37:38] offset0:26 offset1:39
	ds_write2_b64 v14, v[39:40], v[45:46] offset0:52 offset1:65
	s_and_saveexec_b64 s[4:5], s[0:1]
	s_cbranch_execz .LBB0_15
; %bb.14:
	v_add_u16_e32 v14, 0x9c, v36
	v_mul_lo_u16_sdwa v15, v14, s6 dst_sel:DWORD dst_unused:UNUSED_PAD src0_sel:BYTE_0 src1_sel:DWORD
	v_lshrrev_b16_e32 v15, 10, v15
	v_mul_lo_u16_e32 v15, 13, v15
	v_sub_u16_e32 v24, v14, v15
	v_mul_u32_u24_sdwa v14, v24, v44 dst_sel:DWORD dst_unused:UNUSED_PAD src0_sel:BYTE_0 src1_sel:DWORD
	v_lshlrev_b32_e32 v25, 3, v14
	global_load_dwordx4 v[14:17], v25, s[8:9]
	global_load_dwordx4 v[18:21], v25, s[8:9] offset:16
	global_load_dwordx2 v[22:23], v25, s[8:9] offset:32
	v_lshlrev_b32_sdwa v12, v12, v24 dst_sel:DWORD dst_unused:UNUSED_PAD src0_sel:DWORD src1_sel:BYTE_0
	v_add3_u32 v12, 0, v12, v13
	v_add_u32_e32 v12, 0x1800, v12
	s_waitcnt vmcnt(2)
	v_mul_f32_e32 v13, v4, v17
	s_waitcnt vmcnt(1)
	v_mul_f32_e32 v24, v8, v21
	v_mul_f32_e32 v17, v5, v17
	v_mul_f32_e32 v25, v3, v15
	v_mul_f32_e32 v26, v7, v19
	s_waitcnt vmcnt(0)
	v_mul_f32_e32 v27, v11, v23
	v_mul_f32_e32 v19, v6, v19
	;; [unrolled: 1-line block ×5, first 2 shown]
	v_fma_f32 v5, v5, v16, -v13
	v_fma_f32 v9, v9, v20, -v24
	v_fmac_f32_e32 v17, v4, v16
	v_fmac_f32_e32 v25, v2, v14
	;; [unrolled: 1-line block ×4, first 2 shown]
	v_fma_f32 v2, v7, v18, -v19
	v_fma_f32 v4, v11, v22, -v23
	v_fmac_f32_e32 v21, v8, v20
	v_fma_f32 v3, v3, v14, -v15
	v_add_f32_e32 v6, v5, v9
	v_add_f32_e32 v8, v26, v27
	;; [unrolled: 1-line block ×3, first 2 shown]
	v_sub_f32_e32 v7, v17, v21
	v_sub_f32_e32 v10, v2, v4
	;; [unrolled: 1-line block ×3, first 2 shown]
	v_add_f32_e32 v14, v1, v5
	v_add_f32_e32 v2, v3, v2
	;; [unrolled: 1-line block ×5, first 2 shown]
	v_fma_f32 v6, -0.5, v6, v1
	v_fma_f32 v8, -0.5, v8, v25
	;; [unrolled: 1-line block ×3, first 2 shown]
	v_sub_f32_e32 v5, v5, v9
	v_add_f32_e32 v3, v14, v9
	v_add_f32_e32 v2, v2, v4
	v_fma_f32 v9, -0.5, v15, v0
	v_add_f32_e32 v4, v16, v21
	v_add_f32_e32 v14, v17, v27
	v_mov_b32_e32 v15, v6
	v_mov_b32_e32 v16, v8
	;; [unrolled: 1-line block ×3, first 2 shown]
	v_fmac_f32_e32 v11, 0x3f5db3d7, v13
	v_fmac_f32_e32 v6, 0x3f5db3d7, v7
	;; [unrolled: 1-line block ×6, first 2 shown]
	v_mul_f32_e32 v7, 0.5, v11
	v_mul_f32_e32 v10, 0xbf5db3d7, v11
	v_mov_b32_e32 v18, v9
	v_fmac_f32_e32 v9, 0xbf5db3d7, v5
	v_mul_f32_e32 v11, -0.5, v17
	v_fmac_f32_e32 v7, 0x3f5db3d7, v8
	v_mul_f32_e32 v13, 0xbf5db3d7, v17
	v_fmac_f32_e32 v10, 0.5, v8
	v_sub_f32_e32 v1, v3, v2
	v_add_f32_e32 v3, v3, v2
	v_add_f32_e32 v2, v4, v14
	v_fmac_f32_e32 v18, 0x3f5db3d7, v5
	v_fmac_f32_e32 v11, 0x3f5db3d7, v16
	v_sub_f32_e32 v5, v6, v7
	v_fmac_f32_e32 v13, -0.5, v16
	v_add_f32_e32 v7, v6, v7
	v_add_f32_e32 v6, v9, v10
	v_sub_f32_e32 v0, v4, v14
	v_sub_f32_e32 v4, v9, v10
	;; [unrolled: 1-line block ×4, first 2 shown]
	v_add_f32_e32 v11, v15, v11
	v_add_f32_e32 v10, v18, v13
	ds_write2_b64 v12, v[2:3], v[6:7] offset0:168 offset1:181
	ds_write2_b64 v12, v[10:11], v[0:1] offset0:194 offset1:207
	;; [unrolled: 1-line block ×3, first 2 shown]
.LBB0_15:
	s_or_b64 exec, exec, s[4:5]
	s_waitcnt lgkmcnt(0)
	s_barrier
	s_and_saveexec_b64 s[0:1], vcc
	s_cbranch_execz .LBB0_17
; %bb.16:
	v_mul_u32_u24_e32 v0, 12, v36
	v_lshlrev_b32_e32 v0, 3, v0
	global_load_dwordx4 v[2:5], v0, s[8:9] offset:600
	global_load_dwordx4 v[6:9], v0, s[8:9] offset:520
	global_load_dwordx4 v[10:13], v0, s[8:9] offset:584
	global_load_dwordx4 v[14:17], v0, s[8:9] offset:536
	global_load_dwordx4 v[18:21], v0, s[8:9] offset:568
	global_load_dwordx4 v[22:25], v0, s[8:9] offset:552
	v_add_u32_e32 v30, 0x1800, v42
	ds_read2_b64 v[26:29], v42 offset0:78 offset1:156
	ds_read_b64 v[0:1], v43
	v_add_u32_e32 v44, 0x400, v42
	v_add_u32_e32 v48, 0x1000, v42
	;; [unrolled: 1-line block ×4, first 2 shown]
	ds_read2_b64 v[36:39], v30 offset0:90 offset1:168
	ds_read2_b64 v[40:43], v31 offset0:62 offset1:140
	;; [unrolled: 1-line block ×5, first 2 shown]
	s_mov_b32 s0, 0xbf788fa5
	s_mov_b32 s1, 0x3f62ad3f
	s_mov_b32 s4, 0xbf3f9e67
	s_mov_b32 s5, 0x3f116cb1
	s_mov_b32 s6, 0xbeb58ec6
	s_mov_b32 s7, 0x3df6dbef
	s_movk_i32 s8, 0x1000
	s_waitcnt vmcnt(5) lgkmcnt(4)
	v_mul_f32_e32 v30, v5, v38
	s_waitcnt vmcnt(4)
	v_mul_f32_e32 v31, v7, v26
	v_mul_f32_e32 v57, v9, v29
	;; [unrolled: 1-line block ×5, first 2 shown]
	s_waitcnt vmcnt(2) lgkmcnt(2)
	v_mul_f32_e32 v61, v17, v46
	v_mul_f32_e32 v62, v17, v47
	s_waitcnt vmcnt(1) lgkmcnt(1)
	v_mul_f32_e32 v17, v21, v50
	v_fma_f32 v27, v6, v27, -v31
	v_fmac_f32_e32 v57, v8, v28
	v_fma_f32 v28, v4, v39, -v30
	v_mul_f32_e32 v38, v4, v38
	v_mul_f32_e32 v60, v15, v45
	s_waitcnt vmcnt(0) lgkmcnt(0)
	v_mul_f32_e32 v63, v23, v52
	v_mul_f32_e32 v52, v22, v52
	;; [unrolled: 1-line block ×3, first 2 shown]
	v_fmac_f32_e32 v56, v6, v26
	v_fma_f32 v26, v8, v29, -v7
	v_fma_f32 v29, v2, v37, -v9
	;; [unrolled: 1-line block ×3, first 2 shown]
	v_add_f32_e32 v17, v28, v27
	v_mul_f32_e32 v36, v2, v36
	v_mul_f32_e32 v59, v15, v44
	v_fmac_f32_e32 v38, v39, v5
	v_fmac_f32_e32 v60, v14, v44
	;; [unrolled: 1-line block ×3, first 2 shown]
	v_add_f32_e32 v23, v29, v26
	v_mul_f32_e32 v44, 0xbf788fa5, v17
	v_fmac_f32_e32 v36, v37, v3
	v_fma_f32 v31, v14, v45, -v59
	v_sub_f32_e32 v8, v56, v38
	v_mul_f32_e32 v45, 0x3f62ad3f, v23
	v_mov_b32_e32 v2, v44
	v_mul_f32_e32 v58, v13, v42
	v_sub_f32_e32 v7, v57, v36
	v_mov_b32_e32 v3, v45
	v_fmac_f32_e32 v2, 0x3e750f2a, v8
	v_mul_f32_e32 v64, v25, v54
	v_fma_f32 v30, v12, v43, -v58
	v_fmac_f32_e32 v3, 0xbeedf032, v7
	v_add_f32_e32 v2, v2, v1
	v_mul_f32_e32 v42, v12, v42
	v_mul_f32_e32 v54, v24, v54
	v_fmac_f32_e32 v50, v51, v21
	v_fma_f32 v21, v24, v55, -v64
	v_add_f32_e32 v24, v30, v31
	v_add_f32_e32 v2, v2, v3
	v_mul_f32_e32 v3, v19, v48
	v_fmac_f32_e32 v42, v43, v13
	v_fmac_f32_e32 v62, v16, v46
	v_mul_f32_e32 v46, 0xbf3f9e67, v24
	v_fmac_f32_e32 v54, v55, v25
	v_fma_f32 v25, v18, v49, -v3
	v_mul_f32_e32 v48, v18, v48
	v_sub_f32_e32 v18, v27, v28
	v_fma_f32 v22, v22, v53, -v63
	v_sub_f32_e32 v6, v60, v42
	v_mov_b32_e32 v9, v46
	v_fmac_f32_e32 v48, v49, v19
	v_mul_f32_e32 v53, 0xbe750f2a, v18
	v_sub_f32_e32 v19, v26, v29
	v_fmac_f32_e32 v9, 0x3f29c268, v6
	v_add_f32_e32 v49, v38, v56
	v_mov_b32_e32 v3, v53
	v_mul_f32_e32 v58, 0x3eedf032, v19
	v_mul_f32_e32 v15, v11, v40
	v_fma_f32 v39, v16, v47, -v61
	v_add_f32_e32 v2, v2, v9
	v_fmac_f32_e32 v3, 0xbf788fa5, v49
	v_add_f32_e32 v55, v36, v57
	v_mov_b32_e32 v9, v58
	v_sub_f32_e32 v61, v31, v30
	v_fma_f32 v37, v10, v41, -v15
	v_add_f32_e32 v3, v3, v0
	v_fmac_f32_e32 v9, 0x3f62ad3f, v55
	v_mul_f32_e32 v63, 0xbf29c268, v61
	v_mul_f32_e32 v40, v10, v40
	v_add_f32_e32 v3, v3, v9
	v_add_f32_e32 v59, v42, v60
	v_mov_b32_e32 v9, v63
	v_sub_f32_e32 v65, v39, v37
	v_fmac_f32_e32 v40, v41, v11
	v_fmac_f32_e32 v9, 0xbf3f9e67, v59
	v_mul_f32_e32 v66, 0x3f52af12, v65
	v_add_f32_e32 v41, v37, v39
	v_add_f32_e32 v3, v3, v9
	;; [unrolled: 1-line block ×3, first 2 shown]
	v_mov_b32_e32 v9, v66
	v_sub_f32_e32 v68, v22, v20
	v_add_f32_e32 v43, v20, v22
	v_mul_f32_e32 v47, 0x3f116cb1, v41
	v_fmac_f32_e32 v9, 0x3f116cb1, v64
	v_mul_f32_e32 v69, 0xbf6f5d39, v68
	v_sub_f32_e32 v5, v62, v40
	v_mul_f32_e32 v51, 0xbeb58ec6, v43
	v_mov_b32_e32 v10, v47
	v_add_f32_e32 v3, v3, v9
	v_add_f32_e32 v67, v50, v52
	v_mov_b32_e32 v9, v69
	v_add_f32_e32 v70, v25, v21
	v_sub_f32_e32 v4, v52, v50
	v_mov_b32_e32 v11, v51
	v_fmac_f32_e32 v10, 0xbf52af12, v5
	v_fmac_f32_e32 v9, 0xbeb58ec6, v67
	v_mul_f32_e32 v71, 0x3df6dbef, v70
	v_fmac_f32_e32 v11, 0x3f6f5d39, v4
	v_add_f32_e32 v2, v2, v10
	v_add_f32_e32 v9, v3, v9
	v_sub_f32_e32 v72, v54, v48
	v_mov_b32_e32 v3, v71
	v_sub_f32_e32 v74, v21, v25
	v_add_f32_e32 v2, v2, v11
	v_fmac_f32_e32 v3, 0xbf7e222b, v72
	v_mul_f32_e32 v75, 0x3f7e222b, v74
	v_add_f32_e32 v3, v2, v3
	v_add_f32_e32 v73, v48, v54
	v_mov_b32_e32 v2, v75
	v_fmac_f32_e32 v2, 0x3df6dbef, v73
	v_mul_f32_e32 v76, 0xbf3f9e67, v17
	v_add_f32_e32 v2, v9, v2
	v_mov_b32_e32 v9, v76
	v_mul_f32_e32 v77, 0x3df6dbef, v23
	v_fmac_f32_e32 v9, 0x3f29c268, v8
	v_mov_b32_e32 v10, v77
	v_add_f32_e32 v9, v9, v1
	v_fmac_f32_e32 v10, 0xbf7e222b, v7
	v_mul_f32_e32 v78, 0x3f116cb1, v24
	v_add_f32_e32 v9, v9, v10
	v_mov_b32_e32 v10, v78
	v_fmac_f32_e32 v10, 0x3f52af12, v6
	v_mul_f32_e32 v79, 0xbf788fa5, v41
	v_add_f32_e32 v9, v9, v10
	v_mov_b32_e32 v10, v79
	v_fmac_f32_e32 v10, 0xbe750f2a, v5
	v_mul_f32_e32 v80, 0x3f62ad3f, v43
	v_add_f32_e32 v9, v9, v10
	v_mov_b32_e32 v10, v80
	v_fmac_f32_e32 v10, 0xbeedf032, v4
	v_mul_f32_e32 v81, 0xbf29c268, v18
	v_add_f32_e32 v9, v9, v10
	v_mov_b32_e32 v10, v81
	v_mul_f32_e32 v82, 0x3f7e222b, v19
	v_fmac_f32_e32 v10, 0xbf3f9e67, v49
	v_mov_b32_e32 v11, v82
	v_add_f32_e32 v10, v10, v0
	v_fmac_f32_e32 v11, 0x3df6dbef, v55
	v_mul_f32_e32 v83, 0xbf52af12, v61
	v_add_f32_e32 v10, v10, v11
	v_mov_b32_e32 v11, v83
	v_fmac_f32_e32 v11, 0x3f116cb1, v59
	v_mul_f32_e32 v84, 0x3e750f2a, v65
	v_add_f32_e32 v10, v10, v11
	v_mov_b32_e32 v11, v84
	v_fmac_f32_e32 v11, 0xbf788fa5, v64
	v_mul_f32_e32 v85, 0x3eedf032, v68
	v_add_f32_e32 v10, v10, v11
	v_mov_b32_e32 v11, v85
	v_fmac_f32_e32 v11, 0x3f62ad3f, v67
	v_mul_f32_e32 v86, 0xbeb58ec6, v70
	v_add_f32_e32 v11, v10, v11
	v_mov_b32_e32 v10, v86
	v_fmac_f32_e32 v10, 0x3f6f5d39, v72
	v_mul_f32_e32 v87, 0xbf6f5d39, v74
	v_add_f32_e32 v10, v9, v10
	v_mov_b32_e32 v9, v87
	v_fmac_f32_e32 v9, 0xbeb58ec6, v73
	v_mul_f32_e32 v88, 0xbeb58ec6, v17
	v_add_f32_e32 v9, v11, v9
	v_mov_b32_e32 v11, v88
	v_mul_f32_e32 v89, 0xbf3f9e67, v23
	v_fmac_f32_e32 v11, 0x3f6f5d39, v8
	v_mov_b32_e32 v12, v89
	v_add_f32_e32 v11, v11, v1
	v_fmac_f32_e32 v12, 0xbf29c268, v7
	v_mul_f32_e32 v90, 0x3f62ad3f, v24
	v_add_f32_e32 v11, v11, v12
	v_mov_b32_e32 v12, v90
	v_fmac_f32_e32 v12, 0xbeedf032, v6
	v_mul_f32_e32 v91, 0x3df6dbef, v41
	v_add_f32_e32 v11, v11, v12
	v_mov_b32_e32 v12, v91
	v_fmac_f32_e32 v12, 0x3f7e222b, v5
	v_mul_f32_e32 v92, 0xbf788fa5, v43
	v_add_f32_e32 v11, v11, v12
	v_mov_b32_e32 v12, v92
	v_fmac_f32_e32 v12, 0xbe750f2a, v4
	v_mul_f32_e32 v93, 0xbf6f5d39, v18
	v_add_f32_e32 v11, v11, v12
	v_mov_b32_e32 v12, v93
	v_mul_f32_e32 v94, 0x3f29c268, v19
	v_fmac_f32_e32 v12, 0xbeb58ec6, v49
	v_mov_b32_e32 v13, v94
	v_add_f32_e32 v12, v12, v0
	v_fmac_f32_e32 v13, 0xbf3f9e67, v55
	v_mul_f32_e32 v95, 0x3eedf032, v61
	v_add_f32_e32 v12, v12, v13
	v_mov_b32_e32 v13, v95
	v_fmac_f32_e32 v13, 0x3f62ad3f, v59
	v_mul_f32_e32 v96, 0xbf7e222b, v65
	v_add_f32_e32 v12, v12, v13
	v_mov_b32_e32 v13, v96
	v_fmac_f32_e32 v13, 0x3df6dbef, v64
	v_mul_f32_e32 v97, 0x3e750f2a, v68
	v_add_f32_e32 v12, v12, v13
	v_mov_b32_e32 v13, v97
	v_fmac_f32_e32 v13, 0xbf788fa5, v67
	v_mul_f32_e32 v98, 0x3f116cb1, v70
	v_add_f32_e32 v13, v12, v13
	v_mov_b32_e32 v12, v98
	v_fmac_f32_e32 v12, 0xbf52af12, v72
	v_mul_f32_e32 v99, 0x3f52af12, v74
	;; [unrolled: 48-line block ×3, first 2 shown]
	v_add_f32_e32 v14, v13, v14
	v_mov_b32_e32 v13, v111
	v_fmac_f32_e32 v13, 0xbf3f9e67, v73
	v_mul_f32_e32 v112, 0x3f116cb1, v17
	v_add_f32_e32 v13, v15, v13
	v_mov_b32_e32 v15, v112
	v_mul_f32_e32 v113, 0xbeb58ec6, v23
	v_fmac_f32_e32 v15, 0x3f52af12, v8
	v_mov_b32_e32 v16, v113
	v_add_f32_e32 v15, v15, v1
	v_fmac_f32_e32 v16, 0x3f6f5d39, v7
	v_mul_f32_e32 v114, 0xbf788fa5, v24
	v_add_f32_e32 v15, v15, v16
	v_mov_b32_e32 v16, v114
	v_fmac_f32_e32 v16, 0x3e750f2a, v6
	v_mul_f32_e32 v115, 0xbf3f9e67, v41
	v_add_f32_e32 v15, v15, v16
	v_mov_b32_e32 v16, v115
	;; [unrolled: 4-line block ×4, first 2 shown]
	v_mul_f32_e32 v118, 0xbf6f5d39, v19
	v_fmac_f32_e32 v16, 0x3f116cb1, v49
	v_mov_b32_e32 v119, v118
	v_add_f32_e32 v16, v16, v0
	v_fmac_f32_e32 v119, 0xbeb58ec6, v55
	v_add_f32_e32 v16, v16, v119
	v_mul_f32_e32 v119, 0xbe750f2a, v61
	v_mov_b32_e32 v120, v119
	v_fmac_f32_e32 v120, 0xbf788fa5, v59
	v_add_f32_e32 v16, v16, v120
	v_mul_f32_e32 v120, 0x3f29c268, v65
	v_mov_b32_e32 v121, v120
	;; [unrolled: 4-line block ×3, first 2 shown]
	v_fmac_f32_e32 v122, 0x3df6dbef, v67
	v_mul_f32_e32 v123, 0x3f62ad3f, v70
	v_add_f32_e32 v122, v16, v122
	v_mov_b32_e32 v16, v123
	v_fmac_f32_e32 v16, 0xbeedf032, v72
	v_mul_f32_e32 v124, 0x3eedf032, v74
	v_add_f32_e32 v16, v15, v16
	v_mov_b32_e32 v15, v124
	v_fmac_f32_e32 v15, 0x3f62ad3f, v73
	v_mul_f32_e32 v127, 0xbeedf032, v18
	v_add_f32_e32 v15, v122, v15
	v_mul_f32_e32 v122, 0x3f62ad3f, v17
	v_mov_b32_e32 v18, v127
	v_mul_f32_e32 v128, 0xbf52af12, v19
	v_mov_b32_e32 v17, v122
	v_mul_f32_e32 v125, 0x3f116cb1, v23
	v_fmac_f32_e32 v18, 0x3f62ad3f, v49
	v_mov_b32_e32 v19, v128
	v_fmac_f32_e32 v17, 0x3eedf032, v8
	v_mov_b32_e32 v23, v125
	v_add_f32_e32 v18, v18, v0
	v_fmac_f32_e32 v19, 0x3f116cb1, v55
	v_mul_f32_e32 v61, 0xbf7e222b, v61
	v_add_f32_e32 v17, v17, v1
	v_fmac_f32_e32 v23, 0x3f52af12, v7
	v_mul_f32_e32 v126, 0x3df6dbef, v24
	v_add_f32_e32 v18, v18, v19
	v_mov_b32_e32 v19, v61
	v_add_f32_e32 v17, v17, v23
	v_mov_b32_e32 v23, v126
	v_fmac_f32_e32 v19, 0x3df6dbef, v59
	v_mul_f32_e32 v65, 0xbf6f5d39, v65
	v_fmac_f32_e32 v23, 0x3f7e222b, v6
	v_mul_f32_e32 v41, 0xbeb58ec6, v41
	v_add_f32_e32 v18, v18, v19
	v_mov_b32_e32 v19, v65
	v_add_f32_e32 v17, v17, v23
	v_mov_b32_e32 v23, v41
	v_fmac_f32_e32 v19, 0xbeb58ec6, v64
	v_mul_f32_e32 v68, 0xbf29c268, v68
	;; [unrolled: 8-line block ×3, first 2 shown]
	v_fmac_f32_e32 v23, 0x3f29c268, v4
	v_add_f32_e32 v19, v18, v19
	v_mov_b32_e32 v18, v70
	v_add_f32_e32 v17, v17, v23
	v_fmac_f32_e32 v18, 0x3e750f2a, v72
	v_mul_f32_e32 v74, 0xbe750f2a, v74
	v_add_f32_e32 v18, v17, v18
	v_mov_b32_e32 v17, v74
	v_fmac_f32_e32 v17, 0xbf788fa5, v73
	v_add_f32_e32 v17, v19, v17
	v_add_f32_e32 v19, v27, v1
	;; [unrolled: 1-line block ×23, first 2 shown]
	v_fmac_f32_e32 v44, 0xbe750f2a, v8
	v_add_f32_e32 v20, v28, v19
	v_add_f32_e32 v19, v38, v21
	;; [unrolled: 1-line block ×3, first 2 shown]
	v_fmac_f32_e32 v45, 0x3eedf032, v7
	v_fma_f32 v22, v49, s0, -v53
	v_add_f32_e32 v21, v21, v45
	v_fmac_f32_e32 v46, 0xbf29c268, v6
	v_add_f32_e32 v22, v22, v0
	v_fma_f32 v23, v55, s1, -v58
	v_add_f32_e32 v21, v21, v46
	v_fmac_f32_e32 v47, 0x3f52af12, v5
	v_add_f32_e32 v22, v22, v23
	v_fma_f32 v23, v59, s4, -v63
	v_add_f32_e32 v21, v21, v47
	v_fmac_f32_e32 v51, 0xbf6f5d39, v4
	v_add_f32_e32 v22, v22, v23
	v_fma_f32 v23, v64, s5, -v66
	v_add_f32_e32 v21, v21, v51
	v_add_f32_e32 v22, v22, v23
	v_fma_f32 v23, v67, s6, -v69
	v_fmac_f32_e32 v71, 0x3f7e222b, v72
	v_add_f32_e32 v23, v22, v23
	v_add_f32_e32 v22, v21, v71
	v_fma_f32 v21, v73, s7, -v75
	v_fmac_f32_e32 v76, 0xbf29c268, v8
	v_add_f32_e32 v21, v23, v21
	v_add_f32_e32 v23, v76, v1
	v_fmac_f32_e32 v77, 0x3f7e222b, v7
	v_fma_f32 v24, v49, s4, -v81
	v_add_f32_e32 v23, v23, v77
	v_fmac_f32_e32 v78, 0xbf52af12, v6
	v_add_f32_e32 v24, v24, v0
	v_fma_f32 v25, v55, s7, -v82
	v_add_f32_e32 v23, v23, v78
	v_fmac_f32_e32 v79, 0x3e750f2a, v5
	v_add_f32_e32 v24, v24, v25
	v_fma_f32 v25, v59, s5, -v83
	v_add_f32_e32 v23, v23, v79
	v_fmac_f32_e32 v80, 0x3eedf032, v4
	v_add_f32_e32 v24, v24, v25
	v_fma_f32 v25, v64, s0, -v84
	v_add_f32_e32 v23, v23, v80
	v_add_f32_e32 v24, v24, v25
	v_fma_f32 v25, v67, s1, -v85
	v_fmac_f32_e32 v86, 0xbf6f5d39, v72
	v_add_f32_e32 v25, v24, v25
	v_add_f32_e32 v24, v23, v86
	v_fma_f32 v23, v73, s6, -v87
	v_fmac_f32_e32 v88, 0xbf6f5d39, v8
	v_add_f32_e32 v23, v25, v23
	v_add_f32_e32 v25, v88, v1
	;; [unrolled: 24-line block ×4, first 2 shown]
	v_fmac_f32_e32 v113, 0xbf6f5d39, v7
	v_add_f32_e32 v29, v29, v113
	v_fmac_f32_e32 v114, 0xbe750f2a, v6
	v_add_f32_e32 v29, v29, v114
	;; [unrolled: 2-line block ×5, first 2 shown]
	v_fma_f32 v29, v49, s5, -v117
	v_fmac_f32_e32 v43, 0xbf29c268, v4
	v_fma_f32 v4, v49, s1, -v127
	v_add_f32_e32 v29, v29, v0
	v_add_f32_e32 v0, v4, v0
	v_fma_f32 v4, v55, s5, -v128
	v_add_f32_e32 v0, v0, v4
	v_fma_f32 v4, v59, s7, -v61
	v_add_f32_e32 v0, v0, v4
	v_fma_f32 v4, v64, s6, -v65
	v_add_f32_e32 v0, v0, v4
	v_fma_f32 v4, v67, s4, -v68
	v_add_f32_e32 v0, v0, v4
	v_fma_f32 v4, v73, s0, -v74
	v_fmac_f32_e32 v126, 0xbf7e222b, v6
	v_add_f32_e32 v0, v0, v4
	v_mov_b32_e32 v4, s3
	v_add_co_u32_e32 v6, vcc, s2, v32
	v_fmac_f32_e32 v122, 0xbeedf032, v8
	v_fmac_f32_e32 v125, 0xbf52af12, v7
	;; [unrolled: 1-line block ×3, first 2 shown]
	v_addc_co_u32_e32 v7, vcc, v4, v33, vcc
	v_lshlrev_b64 v[4:5], 3, v[34:35]
	v_fma_f32 v31, v55, s6, -v118
	v_add_f32_e32 v1, v122, v1
	v_add_f32_e32 v29, v29, v31
	v_fma_f32 v31, v59, s0, -v119
	v_add_f32_e32 v1, v1, v125
	v_add_co_u32_e32 v4, vcc, v6, v4
	v_add_f32_e32 v29, v29, v31
	v_fma_f32 v31, v64, s4, -v120
	v_add_f32_e32 v1, v1, v126
	v_addc_co_u32_e32 v5, vcc, v7, v5, vcc
	v_add_f32_e32 v29, v29, v31
	v_fma_f32 v31, v67, s7, -v121
	v_add_f32_e32 v1, v1, v41
	global_store_dwordx2 v[4:5], v[19:20], off
	global_store_dwordx2 v[4:5], v[17:18], off offset:624
	global_store_dwordx2 v[4:5], v[15:16], off offset:1248
	;; [unrolled: 1-line block ×6, first 2 shown]
	v_add_co_u32_e32 v2, vcc, s8, v4
	v_add_f32_e32 v29, v29, v31
	v_fma_f32 v31, v73, s1, -v124
	v_add_f32_e32 v1, v1, v43
	v_fmac_f32_e32 v70, 0xbe750f2a, v72
	v_addc_co_u32_e32 v3, vcc, 0, v5, vcc
	v_add_f32_e32 v29, v29, v31
	v_add_f32_e32 v1, v1, v70
	global_store_dwordx2 v[2:3], v[21:22], off offset:272
	global_store_dwordx2 v[2:3], v[23:24], off offset:896
	;; [unrolled: 1-line block ×6, first 2 shown]
.LBB0_17:
	s_endpgm
	.section	.rodata,"a",@progbits
	.p2align	6, 0x0
	.amdhsa_kernel fft_rtc_back_len1014_factors_13_6_13_wgs_156_tpt_78_sp_ip_CI_unitstride_sbrr_dirReg
		.amdhsa_group_segment_fixed_size 0
		.amdhsa_private_segment_fixed_size 0
		.amdhsa_kernarg_size 88
		.amdhsa_user_sgpr_count 6
		.amdhsa_user_sgpr_private_segment_buffer 1
		.amdhsa_user_sgpr_dispatch_ptr 0
		.amdhsa_user_sgpr_queue_ptr 0
		.amdhsa_user_sgpr_kernarg_segment_ptr 1
		.amdhsa_user_sgpr_dispatch_id 0
		.amdhsa_user_sgpr_flat_scratch_init 0
		.amdhsa_user_sgpr_private_segment_size 0
		.amdhsa_uses_dynamic_stack 0
		.amdhsa_system_sgpr_private_segment_wavefront_offset 0
		.amdhsa_system_sgpr_workgroup_id_x 1
		.amdhsa_system_sgpr_workgroup_id_y 0
		.amdhsa_system_sgpr_workgroup_id_z 0
		.amdhsa_system_sgpr_workgroup_info 0
		.amdhsa_system_vgpr_workitem_id 0
		.amdhsa_next_free_vgpr 129
		.amdhsa_next_free_sgpr 22
		.amdhsa_reserve_vcc 1
		.amdhsa_reserve_flat_scratch 0
		.amdhsa_float_round_mode_32 0
		.amdhsa_float_round_mode_16_64 0
		.amdhsa_float_denorm_mode_32 3
		.amdhsa_float_denorm_mode_16_64 3
		.amdhsa_dx10_clamp 1
		.amdhsa_ieee_mode 1
		.amdhsa_fp16_overflow 0
		.amdhsa_exception_fp_ieee_invalid_op 0
		.amdhsa_exception_fp_denorm_src 0
		.amdhsa_exception_fp_ieee_div_zero 0
		.amdhsa_exception_fp_ieee_overflow 0
		.amdhsa_exception_fp_ieee_underflow 0
		.amdhsa_exception_fp_ieee_inexact 0
		.amdhsa_exception_int_div_zero 0
	.end_amdhsa_kernel
	.text
.Lfunc_end0:
	.size	fft_rtc_back_len1014_factors_13_6_13_wgs_156_tpt_78_sp_ip_CI_unitstride_sbrr_dirReg, .Lfunc_end0-fft_rtc_back_len1014_factors_13_6_13_wgs_156_tpt_78_sp_ip_CI_unitstride_sbrr_dirReg
                                        ; -- End function
	.section	.AMDGPU.csdata,"",@progbits
; Kernel info:
; codeLenInByte = 9224
; NumSgprs: 26
; NumVgprs: 129
; ScratchSize: 0
; MemoryBound: 0
; FloatMode: 240
; IeeeMode: 1
; LDSByteSize: 0 bytes/workgroup (compile time only)
; SGPRBlocks: 3
; VGPRBlocks: 32
; NumSGPRsForWavesPerEU: 26
; NumVGPRsForWavesPerEU: 129
; Occupancy: 1
; WaveLimiterHint : 1
; COMPUTE_PGM_RSRC2:SCRATCH_EN: 0
; COMPUTE_PGM_RSRC2:USER_SGPR: 6
; COMPUTE_PGM_RSRC2:TRAP_HANDLER: 0
; COMPUTE_PGM_RSRC2:TGID_X_EN: 1
; COMPUTE_PGM_RSRC2:TGID_Y_EN: 0
; COMPUTE_PGM_RSRC2:TGID_Z_EN: 0
; COMPUTE_PGM_RSRC2:TIDIG_COMP_CNT: 0
	.type	__hip_cuid_ef7238b815885292,@object ; @__hip_cuid_ef7238b815885292
	.section	.bss,"aw",@nobits
	.globl	__hip_cuid_ef7238b815885292
__hip_cuid_ef7238b815885292:
	.byte	0                               ; 0x0
	.size	__hip_cuid_ef7238b815885292, 1

	.ident	"AMD clang version 19.0.0git (https://github.com/RadeonOpenCompute/llvm-project roc-6.4.0 25133 c7fe45cf4b819c5991fe208aaa96edf142730f1d)"
	.section	".note.GNU-stack","",@progbits
	.addrsig
	.addrsig_sym __hip_cuid_ef7238b815885292
	.amdgpu_metadata
---
amdhsa.kernels:
  - .args:
      - .actual_access:  read_only
        .address_space:  global
        .offset:         0
        .size:           8
        .value_kind:     global_buffer
      - .offset:         8
        .size:           8
        .value_kind:     by_value
      - .actual_access:  read_only
        .address_space:  global
        .offset:         16
        .size:           8
        .value_kind:     global_buffer
      - .actual_access:  read_only
        .address_space:  global
        .offset:         24
        .size:           8
        .value_kind:     global_buffer
      - .offset:         32
        .size:           8
        .value_kind:     by_value
      - .actual_access:  read_only
        .address_space:  global
        .offset:         40
        .size:           8
        .value_kind:     global_buffer
      - .actual_access:  read_only
        .address_space:  global
        .offset:         48
        .size:           8
        .value_kind:     global_buffer
      - .offset:         56
        .size:           4
        .value_kind:     by_value
      - .actual_access:  read_only
        .address_space:  global
        .offset:         64
        .size:           8
        .value_kind:     global_buffer
      - .actual_access:  read_only
        .address_space:  global
        .offset:         72
        .size:           8
        .value_kind:     global_buffer
      - .address_space:  global
        .offset:         80
        .size:           8
        .value_kind:     global_buffer
    .group_segment_fixed_size: 0
    .kernarg_segment_align: 8
    .kernarg_segment_size: 88
    .language:       OpenCL C
    .language_version:
      - 2
      - 0
    .max_flat_workgroup_size: 156
    .name:           fft_rtc_back_len1014_factors_13_6_13_wgs_156_tpt_78_sp_ip_CI_unitstride_sbrr_dirReg
    .private_segment_fixed_size: 0
    .sgpr_count:     26
    .sgpr_spill_count: 0
    .symbol:         fft_rtc_back_len1014_factors_13_6_13_wgs_156_tpt_78_sp_ip_CI_unitstride_sbrr_dirReg.kd
    .uniform_work_group_size: 1
    .uses_dynamic_stack: false
    .vgpr_count:     129
    .vgpr_spill_count: 0
    .wavefront_size: 64
amdhsa.target:   amdgcn-amd-amdhsa--gfx906
amdhsa.version:
  - 1
  - 2
...

	.end_amdgpu_metadata
